;; amdgpu-corpus repo=ROCm/rocFFT kind=compiled arch=gfx1030 opt=O3
	.text
	.amdgcn_target "amdgcn-amd-amdhsa--gfx1030"
	.amdhsa_code_object_version 6
	.protected	fft_rtc_fwd_len243_factors_3_3_3_3_3_wgs_216_tpt_27_sp_op_CI_CI_sbrc_erc_z_xy_unaligned_dirReg ; -- Begin function fft_rtc_fwd_len243_factors_3_3_3_3_3_wgs_216_tpt_27_sp_op_CI_CI_sbrc_erc_z_xy_unaligned_dirReg
	.globl	fft_rtc_fwd_len243_factors_3_3_3_3_3_wgs_216_tpt_27_sp_op_CI_CI_sbrc_erc_z_xy_unaligned_dirReg
	.p2align	8
	.type	fft_rtc_fwd_len243_factors_3_3_3_3_3_wgs_216_tpt_27_sp_op_CI_CI_sbrc_erc_z_xy_unaligned_dirReg,@function
fft_rtc_fwd_len243_factors_3_3_3_3_3_wgs_216_tpt_27_sp_op_CI_CI_sbrc_erc_z_xy_unaligned_dirReg: ; @fft_rtc_fwd_len243_factors_3_3_3_3_3_wgs_216_tpt_27_sp_op_CI_CI_sbrc_erc_z_xy_unaligned_dirReg
; %bb.0:
	s_load_dwordx8 s[8:15], s[4:5], 0x0
	s_waitcnt lgkmcnt(0)
	s_load_dwordx4 s[0:3], s[12:13], 0x8
	s_waitcnt lgkmcnt(0)
	s_add_i32 s1, s0, -1
	s_lshr_b32 s1, s1, 3
	s_add_i32 s3, s1, 1
	s_mul_i32 s2, s3, s2
	v_cvt_f32_u32_e32 v2, s3
	v_cvt_f32_u32_e32 v1, s2
	s_sub_i32 s12, 0, s2
	v_rcp_iflag_f32_e32 v2, v2
	v_rcp_iflag_f32_e32 v1, v1
	v_mul_f32_e32 v1, 0x4f7ffffe, v1
	v_cvt_u32_f32_e32 v1, v1
	v_readfirstlane_b32 s7, v1
	v_mul_f32_e32 v1, 0x4f7ffffe, v2
	s_mul_i32 s12, s12, s7
	v_cvt_u32_f32_e32 v1, v1
	s_mul_hi_u32 s12, s7, s12
	s_add_i32 s7, s7, s12
	v_readfirstlane_b32 s17, v1
	s_mul_hi_u32 s7, s6, s7
	s_mul_i32 s12, s7, s2
	s_add_i32 s13, s7, 1
	s_sub_i32 s12, s6, s12
	s_sub_i32 s16, s12, s2
	s_cmp_ge_u32 s12, s2
	s_cselect_b32 s7, s13, s7
	s_cselect_b32 s12, s16, s12
	s_add_i32 s13, s7, 1
	s_cmp_ge_u32 s12, s2
	s_cselect_b32 s22, s13, s7
	s_not_b32 s1, s1
	s_mul_i32 s2, s22, s2
	s_mul_i32 s1, s1, s17
	s_sub_i32 s2, s6, s2
	s_mul_hi_u32 s1, s17, s1
	s_load_dword s13, s[14:15], 0x10
	s_add_i32 s1, s17, s1
	s_load_dwordx4 s[16:19], s[14:15], 0x0
	s_mul_hi_u32 s7, s2, s1
	s_mul_hi_u32 s1, s6, s1
	s_mul_i32 s12, s7, s3
	s_mul_i32 s1, s1, s3
	s_sub_i32 s2, s2, s12
	s_add_i32 s12, s7, 1
	s_waitcnt lgkmcnt(0)
	s_sub_i32 s19, s2, s3
	s_cmp_ge_u32 s2, s3
	s_cselect_b32 s7, s12, s7
	s_cselect_b32 s2, s19, s2
	s_add_i32 s12, s7, 1
	s_cmp_ge_u32 s2, s3
	s_cselect_b32 s19, s12, s7
	s_sub_i32 s1, s6, s1
	s_sub_i32 s2, s1, s3
	s_cmp_ge_u32 s1, s3
	s_mul_i32 s6, s19, s13
	s_cselect_b32 s1, s2, s1
	s_sub_i32 s2, s1, s3
	s_cmp_ge_u32 s1, s3
	s_cselect_b32 s1, s2, s1
	s_lshl_b64 s[2:3], s[10:11], 3
	s_lshl_b32 s1, s1, 3
	s_mul_i32 s7, s1, s18
	s_add_i32 s12, s7, s6
	s_add_u32 s6, s14, s2
	s_addc_u32 s7, s15, s3
	s_load_dwordx2 s[6:7], s[6:7], 0x0
	s_clause 0x1
	s_load_dwordx2 s[24:25], s[4:5], 0x20
	s_load_dwordx2 s[10:11], s[4:5], 0x58
	s_waitcnt lgkmcnt(0)
	s_mul_i32 s7, s7, s22
	s_mul_hi_u32 s13, s6, s22
	s_mul_i32 s6, s6, s22
	s_add_i32 s13, s13, s7
	s_add_u32 s20, s6, s12
	s_addc_u32 s21, s13, 0
	s_add_u32 s6, s24, s2
	s_addc_u32 s7, s25, s3
	s_clause 0x2
	s_load_dwordx4 s[12:15], s[24:25], 0x0
	s_load_dwordx2 s[2:3], s[24:25], 0x10
	s_load_dwordx2 s[6:7], s[6:7], 0x0
	s_waitcnt lgkmcnt(0)
	s_add_i32 s3, s1, 8
	s_mov_b32 s15, -1
	s_cmp_le_u32 s3, s0
	s_cselect_b32 s3, -1, 0
	s_and_b32 vcc_lo, exec_lo, s3
	s_cbranch_vccz .LBB0_2
; %bb.1:
	v_mov_b32_e32 v1, 0x10e
	v_add_nc_u16 v4, v0, 0xd8
	v_add_nc_u16 v5, v0, 0x1b0
	v_mov_b32_e32 v18, 0x437
	v_add_nc_u16 v9, v0, 0x288
	v_mul_u32_u24_sdwa v3, v0, v1 dst_sel:DWORD dst_unused:UNUSED_PAD src0_sel:WORD_0 src1_sel:DWORD
	v_mul_u32_u24_sdwa v1, v4, v1 dst_sel:DWORD dst_unused:UNUSED_PAD src0_sel:WORD_0 src1_sel:DWORD
	v_add_nc_u16 v19, v0, 0x360
	v_mov_b32_e32 v2, 0
	v_mul_u32_u24_sdwa v7, v9, v18 dst_sel:DWORD dst_unused:UNUSED_PAD src0_sel:WORD_0 src1_sel:DWORD
	v_lshrrev_b32_e32 v28, 16, v3
	v_lshrrev_b32_e32 v29, 16, v1
	s_lshl_b64 s[24:25], s[20:21], 3
	v_add_nc_u16 v22, v0, 0x6c0
	v_lshrrev_b32_e32 v32, 18, v7
	v_mul_lo_u16 v3, 0xf3, v28
	v_mul_lo_u16 v6, 0xf3, v29
	s_add_u32 s15, s10, s24
	s_addc_u32 s23, s11, s25
	v_mul_lo_u16 v10, 0xf3, v32
	v_sub_nc_u16 v1, v0, v3
	v_mul_u32_u24_sdwa v3, v5, v18 dst_sel:DWORD dst_unused:UNUSED_PAD src0_sel:WORD_0 src1_sel:DWORD
	v_sub_nc_u16 v6, v4, v6
	v_and_b32_e32 v30, 0xffff, v1
	v_lshrrev_b32_e32 v31, 18, v3
	v_and_b32_e32 v34, 0xffff, v6
	v_mul_u32_u24_sdwa v1, v19, v18 dst_sel:DWORD dst_unused:UNUSED_PAD src0_sel:WORD_0 src1_sel:DWORD
	v_mad_u64_u32 v[3:4], null, s16, v30, 0
	v_mul_lo_u16 v8, 0xf3, v31
	v_lshrrev_b32_e32 v33, 18, v1
	v_mul_lo_u32 v1, s18, v28
	v_sub_nc_u16 v7, v5, v8
	v_mad_u64_u32 v[5:6], null, s16, v34, 0
	v_and_b32_e32 v35, 0xffff, v7
	v_mad_u64_u32 v[7:8], null, s17, v30, v[4:5]
	v_sub_nc_u16 v4, v9, v10
	v_mad_u64_u32 v[8:9], null, s16, v35, 0
	v_lshlrev_b64 v[10:11], 3, v[1:2]
	v_mul_lo_u32 v1, s18, v29
	v_and_b32_e32 v36, 0xffff, v4
	v_mov_b32_e32 v4, v7
	v_mad_u64_u32 v[6:7], null, s17, v34, v[6:7]
	v_mov_b32_e32 v7, v9
	v_mad_u64_u32 v[12:13], null, s16, v36, 0
	v_lshlrev_b64 v[3:4], 3, v[3:4]
	v_lshlrev_b64 v[14:15], 3, v[1:2]
	v_mad_u64_u32 v[16:17], null, s17, v35, v[7:8]
	v_add_nc_u16 v17, v0, 0x438
	v_add_co_u32 v1, vcc_lo, s15, v3
	v_add_co_ci_u32_e32 v7, vcc_lo, s23, v4, vcc_lo
	v_lshlrev_b64 v[3:4], 3, v[5:6]
	v_mov_b32_e32 v9, v16
	v_add_co_u32 v5, vcc_lo, v1, v10
	v_add_co_ci_u32_e32 v6, vcc_lo, v7, v11, vcc_lo
	v_mul_lo_u16 v10, 0xf3, v33
	v_add_co_u32 v1, vcc_lo, s15, v3
	v_lshlrev_b64 v[8:9], 3, v[8:9]
	v_mov_b32_e32 v7, v13
	v_add_co_ci_u32_e32 v4, vcc_lo, s23, v4, vcc_lo
	v_sub_nc_u16 v13, v19, v10
	v_add_co_u32 v3, vcc_lo, v1, v14
	v_mul_lo_u32 v1, s18, v31
	v_mad_u64_u32 v[10:11], null, s17, v36, v[7:8]
	v_and_b32_e32 v37, 0xffff, v13
	v_add_co_ci_u32_e32 v4, vcc_lo, v4, v15, vcc_lo
	v_add_co_u32 v11, vcc_lo, s15, v8
	v_lshlrev_b64 v[7:8], 3, v[1:2]
	v_mad_u64_u32 v[14:15], null, s16, v37, 0
	v_mov_b32_e32 v13, v10
	v_add_co_ci_u32_e32 v9, vcc_lo, s23, v9, vcc_lo
	v_mul_lo_u32 v1, s18, v32
	v_mul_u32_u24_sdwa v19, v17, v18 dst_sel:DWORD dst_unused:UNUSED_PAD src0_sel:WORD_0 src1_sel:DWORD
	v_add_co_u32 v7, vcc_lo, v11, v7
	v_lshlrev_b64 v[10:11], 3, v[12:13]
	v_add_co_ci_u32_e32 v8, vcc_lo, v9, v8, vcc_lo
	v_mov_b32_e32 v9, v15
	v_lshrrev_b32_e32 v38, 18, v19
	v_lshlrev_b64 v[12:13], 3, v[1:2]
	v_add_co_u32 v1, vcc_lo, s15, v10
	v_mad_u64_u32 v[15:16], null, s17, v37, v[9:10]
	v_add_co_ci_u32_e32 v10, vcc_lo, s23, v11, vcc_lo
	v_mul_lo_u16 v11, 0xf3, v38
	v_add_nc_u16 v16, v0, 0x510
	v_add_co_u32 v9, vcc_lo, v1, v12
	v_add_co_ci_u32_e32 v10, vcc_lo, v10, v13, vcc_lo
	v_sub_nc_u16 v1, v17, v11
	v_mul_u32_u24_sdwa v17, v16, v18 dst_sel:DWORD dst_unused:UNUSED_PAD src0_sel:WORD_0 src1_sel:DWORD
	v_lshlrev_b64 v[11:12], 3, v[14:15]
	s_clause 0x3
	global_load_dwordx2 v[5:6], v[5:6], off
	global_load_dwordx2 v[3:4], v[3:4], off
	;; [unrolled: 1-line block ×4, first 2 shown]
	v_and_b32_e32 v39, 0xffff, v1
	v_lshrrev_b32_e32 v40, 18, v17
	v_add_nc_u16 v17, v0, 0x5e8
	v_mul_lo_u32 v1, s18, v33
	v_add_co_u32 v19, vcc_lo, s15, v11
	v_mad_u64_u32 v[13:14], null, s16, v39, 0
	v_mul_u32_u24_sdwa v21, v17, v18 dst_sel:DWORD dst_unused:UNUSED_PAD src0_sel:WORD_0 src1_sel:DWORD
	v_add_co_ci_u32_e32 v20, vcc_lo, s23, v12, vcc_lo
	v_mul_lo_u16 v15, 0xf3, v40
	v_lshlrev_b64 v[11:12], 3, v[1:2]
	v_lshrrev_b32_e32 v41, 18, v21
	v_mov_b32_e32 v1, v14
	v_mul_u32_u24_sdwa v18, v22, v18 dst_sel:DWORD dst_unused:UNUSED_PAD src0_sel:WORD_0 src1_sel:DWORD
	v_sub_nc_u16 v16, v16, v15
	v_add_co_u32 v11, vcc_lo, v19, v11
	v_mad_u64_u32 v[14:15], null, s17, v39, v[1:2]
	v_mul_lo_u16 v1, 0xf3, v41
	v_lshrrev_b32_e32 v43, 18, v18
	v_and_b32_e32 v42, 0xffff, v16
	v_add_co_ci_u32_e32 v12, vcc_lo, v20, v12, vcc_lo
	v_sub_nc_u16 v17, v17, v1
	v_mul_lo_u16 v18, 0xf3, v43
	v_mad_u64_u32 v[15:16], null, s16, v42, 0
	v_lshlrev_b64 v[13:14], 3, v[13:14]
	v_and_b32_e32 v44, 0xffff, v17
	v_sub_nc_u16 v18, v22, v18
	v_mul_lo_u32 v1, s18, v38
	global_load_dwordx2 v[11:12], v[11:12], off
	v_add_co_u32 v24, vcc_lo, s15, v13
	v_and_b32_e32 v45, 0xffff, v18
	v_mad_u64_u32 v[17:18], null, s16, v44, 0
	v_add_co_ci_u32_e32 v25, vcc_lo, s23, v14, vcc_lo
	v_lshlrev_b64 v[22:23], 3, v[1:2]
	v_mul_lo_u32 v1, s18, v40
	v_mad_u64_u32 v[19:20], null, s17, v42, v[16:17]
	v_mad_u64_u32 v[20:21], null, s16, v45, 0
	v_mov_b32_e32 v13, v18
	v_add_co_u32 v22, vcc_lo, v24, v22
	v_add_co_ci_u32_e32 v23, vcc_lo, v25, v23, vcc_lo
	v_mov_b32_e32 v16, v19
	v_mad_u64_u32 v[13:14], null, s17, v44, v[13:14]
	v_mov_b32_e32 v14, v21
	v_lshlrev_b64 v[24:25], 3, v[1:2]
	v_lshlrev_b64 v[15:16], 3, v[15:16]
	v_mul_lo_u32 v1, s18, v41
	v_mov_b32_e32 v18, v13
	v_mad_u64_u32 v[26:27], null, s17, v45, v[14:15]
	v_add_co_u32 v15, vcc_lo, s15, v15
	v_add_co_ci_u32_e32 v16, vcc_lo, s23, v16, vcc_lo
	v_lshlrev_b64 v[13:14], 3, v[17:18]
	v_lshlrev_b64 v[17:18], 3, v[1:2]
	v_mov_b32_e32 v21, v26
	v_mul_lo_u32 v1, s18, v43
	v_add_co_u32 v15, vcc_lo, v15, v24
	v_add_co_ci_u32_e32 v16, vcc_lo, v16, v25, vcc_lo
	v_lshlrev_b64 v[19:20], 3, v[20:21]
	v_add_co_u32 v13, vcc_lo, s15, v13
	v_add_co_ci_u32_e32 v14, vcc_lo, s23, v14, vcc_lo
	v_lshlrev_b64 v[1:2], 3, v[1:2]
	v_add_co_u32 v19, vcc_lo, s15, v19
	v_add_co_ci_u32_e32 v20, vcc_lo, s23, v20, vcc_lo
	v_add_co_u32 v13, vcc_lo, v13, v17
	v_add_co_ci_u32_e32 v14, vcc_lo, v14, v18, vcc_lo
	;; [unrolled: 2-line block ×3, first 2 shown]
	s_clause 0x3
	global_load_dwordx2 v[17:18], v[22:23], off
	global_load_dwordx2 v[15:16], v[15:16], off
	;; [unrolled: 1-line block ×4, first 2 shown]
	v_mul_u32_u24_e32 v19, 0x7a0, v28
	v_lshlrev_b32_e32 v20, 3, v30
	v_mul_u32_u24_e32 v21, 0x7a0, v29
	v_lshlrev_b32_e32 v22, 3, v34
	;; [unrolled: 2-line block ×4, first 2 shown]
	v_add3_u32 v19, 0, v19, v20
	v_add3_u32 v20, 0, v21, v22
	;; [unrolled: 1-line block ×3, first 2 shown]
	v_mul_u32_u24_e32 v23, 0x7a0, v33
	v_lshlrev_b32_e32 v24, 3, v37
	v_add3_u32 v22, 0, v25, v26
	s_mov_b32 s15, 0
	s_waitcnt vmcnt(8)
	ds_write_b64 v19, v[5:6]
	s_waitcnt vmcnt(7)
	ds_write_b64 v20, v[3:4]
	s_waitcnt vmcnt(6)
	ds_write_b64 v21, v[7:8]
	s_waitcnt vmcnt(5)
	ds_write_b64 v22, v[9:10]
	v_add3_u32 v3, 0, v23, v24
	v_mul_u32_u24_e32 v4, 0x7a0, v38
	v_lshlrev_b32_e32 v5, 3, v39
	v_mul_u32_u24_e32 v10, 0x7a0, v43
	v_lshlrev_b32_e32 v19, 3, v45
	;; [unrolled: 2-line block ×4, first 2 shown]
	v_add3_u32 v4, 0, v4, v5
	v_add3_u32 v5, 0, v6, v7
	;; [unrolled: 1-line block ×3, first 2 shown]
	s_waitcnt vmcnt(4)
	ds_write_b64 v3, v[11:12]
	v_add3_u32 v3, 0, v10, v19
	s_waitcnt vmcnt(3)
	ds_write_b64 v4, v[17:18]
	s_waitcnt vmcnt(2)
	ds_write_b64 v5, v[15:16]
	;; [unrolled: 2-line block ×4, first 2 shown]
.LBB0_2:
	s_load_dwordx2 s[4:5], s[4:5], 0x60
	s_andn2_b32 vcc_lo, exec_lo, s15
	s_cbranch_vccnz .LBB0_6
; %bb.3:
	s_lshl_b64 s[20:21], s[20:21], 3
	v_mov_b32_e32 v2, 0
	v_mov_b32_e32 v3, 0xdb3
	;; [unrolled: 1-line block ×3, first 2 shown]
	s_add_u32 s10, s10, s20
	s_addc_u32 s15, s11, s21
	s_mov_b32 s11, 0
.LBB0_4:                                ; =>This Inner Loop Header: Depth=1
	v_mul_u32_u24_sdwa v1, v4, v3 dst_sel:DWORD dst_unused:UNUSED_PAD src0_sel:WORD_0 src1_sel:DWORD
	v_lshrrev_b32_e32 v1, 16, v1
	v_sub_nc_u16 v5, v4, v1
	v_lshrrev_b16 v5, 1, v5
	v_add_nc_u16 v1, v5, v1
	v_lshrrev_b16 v8, 7, v1
	v_mul_lo_u16 v1, 0xf3, v8
	v_and_b32_e32 v10, 0xffff, v8
	v_sub_nc_u16 v1, v4, v1
	v_add_nc_u32_e32 v4, 0xd8, v4
	v_and_b32_e32 v9, 0xffff, v1
	v_mad_u64_u32 v[5:6], null, s16, v9, 0
	v_mov_b32_e32 v1, v6
	v_mad_u64_u32 v[6:7], null, s17, v9, v[1:2]
	v_mul_lo_u32 v1, v10, s18
	v_lshlrev_b64 v[5:6], 3, v[5:6]
	v_lshlrev_b64 v[7:8], 3, v[1:2]
	v_add_co_u32 v1, vcc_lo, s10, v5
	v_add_co_ci_u32_e32 v6, vcc_lo, s15, v6, vcc_lo
	v_add_co_u32 v5, vcc_lo, v1, v7
	v_add_co_ci_u32_e32 v6, vcc_lo, v6, v8, vcc_lo
	v_mul_u32_u24_e32 v1, 0x7a0, v10
	v_lshlrev_b32_e32 v7, 3, v9
	v_cmp_lt_u32_e32 vcc_lo, 0x797, v4
	global_load_dwordx2 v[5:6], v[5:6], off
	v_add3_u32 v1, 0, v1, v7
	s_or_b32 s11, vcc_lo, s11
	s_waitcnt vmcnt(0)
	ds_write_b64 v1, v[5:6]
	s_andn2_b32 exec_lo, exec_lo, s11
	s_cbranch_execnz .LBB0_4
; %bb.5:
	s_or_b32 exec_lo, exec_lo, s11
.LBB0_6:
	v_mov_b32_e32 v1, 0x97c
	v_mul_hi_u32 v2, 0x97b425f, v0
	v_mov_b32_e32 v3, 7
	v_mov_b32_e32 v7, 3
	s_waitcnt lgkmcnt(0)
	v_mul_u32_u24_sdwa v1, v0, v1 dst_sel:DWORD dst_unused:UNUSED_PAD src0_sel:WORD_0 src1_sel:DWORD
	s_barrier
	buffer_gl0_inv
	s_mul_hi_u32 s10, s12, s1
	v_mul_u32_u24_e32 v2, 27, v2
	v_and_b32_sdwa v1, v1, v3 dst_sel:DWORD dst_unused:UNUSED_PAD src0_sel:WORD_1 src1_sel:DWORD
	s_mul_i32 s19, s19, s14
	s_mul_i32 s11, s12, s1
	;; [unrolled: 1-line block ×3, first 2 shown]
	v_sub_nc_u32_e32 v27, v0, v2
	v_mul_lo_u16 v1, 0xf4, v1
	s_mul_hi_u32 s14, s6, s22
	s_mul_i32 s6, s6, s22
	v_lshlrev_b32_e32 v2, 3, v27
	v_lshlrev_b32_sdwa v8, v7, v1 dst_sel:DWORD dst_unused:UNUSED_PAD src0_sel:DWORD src1_sel:WORD_0
	v_add_nc_u32_e32 v3, 0, v8
	v_add3_u32 v1, 0, v2, v8
	ds_read2_b64 v[9:12], v1 offset0:81 offset1:108
	ds_read2_b64 v[13:16], v1 offset0:135 offset1:162
	;; [unrolled: 1-line block ×4, first 2 shown]
	v_add_nc_u32_e32 v2, v3, v2
	ds_read_b64 v[25:26], v2
	s_waitcnt lgkmcnt(0)
	s_barrier
	buffer_gl0_inv
	v_add_f32_e32 v4, v9, v15
	v_add_f32_e32 v6, v10, v16
	;; [unrolled: 1-line block ×3, first 2 shown]
	v_sub_f32_e32 v31, v12, v22
	v_add_f32_e32 v32, v18, v12
	v_add_f32_e32 v12, v12, v22
	v_sub_f32_e32 v5, v10, v16
	v_sub_f32_e32 v28, v9, v15
	v_add_f32_e32 v39, v25, v9
	v_fma_f32 v25, -0.5, v4, v25
	v_add_f32_e32 v4, v26, v10
	v_fmac_f32_e32 v26, -0.5, v6
	v_add_f32_e32 v29, v17, v11
	v_sub_f32_e32 v33, v11, v21
	v_fma_f32 v11, -0.5, v30, v17
	v_add_f32_e32 v16, v4, v16
	v_lshlrev_b32_e32 v4, 4, v27
	v_fma_f32 v12, -0.5, v12, v18
	v_add_f32_e32 v15, v39, v15
	v_fmamk_f32 v17, v5, 0x3f5db3d7, v25
	v_fmac_f32_e32 v25, 0xbf5db3d7, v5
	v_fmamk_f32 v18, v28, 0xbf5db3d7, v26
	v_fmac_f32_e32 v26, 0x3f5db3d7, v28
	v_add_nc_u32_e32 v28, v1, v4
	v_mul_lo_u16 v5, 0x56, v27
	v_add_f32_e32 v35, v13, v23
	v_sub_f32_e32 v36, v14, v24
	v_add_f32_e32 v37, v20, v14
	v_add_f32_e32 v14, v14, v24
	;; [unrolled: 1-line block ×4, first 2 shown]
	v_fmamk_f32 v21, v31, 0x3f5db3d7, v11
	v_fmamk_f32 v22, v33, 0xbf5db3d7, v12
	v_add_nc_u32_e32 v6, 27, v27
	v_add_f32_e32 v34, v19, v13
	v_fmac_f32_e32 v11, 0xbf5db3d7, v31
	v_fmac_f32_e32 v12, 0x3f5db3d7, v33
	ds_write2_b64 v28, v[15:16], v[17:18] offset1:1
	ds_write2_b64 v28, v[9:10], v[21:22] offset0:81 offset1:82
	v_lshrrev_b16 v21, 8, v5
	v_add_nc_u32_e32 v5, 54, v27
	v_sub_f32_e32 v38, v13, v23
	v_fma_f32 v19, -0.5, v35, v19
	v_fmac_f32_e32 v20, -0.5, v14
	v_mul_lo_u16 v9, 0x56, v6
	v_add_f32_e32 v13, v34, v23
	v_add_f32_e32 v14, v37, v24
	ds_write2_b64 v28, v[25:26], v[11:12] offset0:2 offset1:83
	v_mul_lo_u16 v12, 0x56, v5
	v_fmamk_f32 v23, v36, 0x3f5db3d7, v19
	v_fmamk_f32 v24, v38, 0xbf5db3d7, v20
	v_add_nc_u32_e32 v10, 0x400, v28
	v_lshrrev_b16 v22, 8, v9
	v_fmac_f32_e32 v19, 0xbf5db3d7, v36
	v_fmac_f32_e32 v20, 0x3f5db3d7, v38
	v_mul_lo_u16 v11, v21, 3
	ds_write_b64 v28, v[13:14] offset:1296
	ds_write2_b32 v10, v23, v24 offset0:70 offset1:71
	v_lshrrev_b16 v23, 8, v12
	v_mul_lo_u16 v9, v22, 3
	v_mov_b32_e32 v39, 4
	v_sub_nc_u16 v25, v27, v11
	ds_write2_b32 v10, v19, v20 offset0:72 offset1:73
	v_mul_lo_u16 v10, v23, 3
	v_sub_nc_u16 v33, v6, v9
	s_waitcnt lgkmcnt(0)
	v_lshlrev_b32_sdwa v9, v39, v25 dst_sel:DWORD dst_unused:UNUSED_PAD src0_sel:DWORD src1_sel:BYTE_0
	s_barrier
	v_sub_nc_u16 v34, v5, v10
	v_lshlrev_b32_sdwa v13, v39, v33 dst_sel:DWORD dst_unused:UNUSED_PAD src0_sel:DWORD src1_sel:BYTE_0
	buffer_gl0_inv
	global_load_dwordx4 v[9:12], v9, s[8:9]
	v_mul_lo_u16 v24, v27, 29
	v_lshlrev_b32_sdwa v17, v39, v34 dst_sel:DWORD dst_unused:UNUSED_PAD src0_sel:DWORD src1_sel:BYTE_0
	s_clause 0x1
	global_load_dwordx4 v[13:16], v13, s[8:9]
	global_load_dwordx4 v[17:20], v17, s[8:9]
	v_lshrrev_b16 v40, 8, v24
	v_mul_lo_u16 v24, v6, 57
	v_mul_lo_u16 v26, v5, 57
	v_and_b32_e32 v21, 0xffff, v21
	v_and_b32_e32 v29, 0xffff, v22
	v_mul_lo_u16 v28, v40, 9
	v_and_b32_e32 v30, 0xffff, v23
	v_lshrrev_b16 v41, 9, v24
	v_lshrrev_b16 v42, 9, v26
	v_mad_u32_u24 v35, 0x48, v21, 0
	v_sub_nc_u16 v43, v27, v28
	ds_read2_b64 v[21:24], v1 offset0:81 offset1:108
	v_lshlrev_b32_sdwa v38, v7, v25 dst_sel:DWORD dst_unused:UNUSED_PAD src0_sel:DWORD src1_sel:BYTE_0
	ds_read2_b64 v[25:28], v1 offset0:135 offset1:162
	v_mad_u32_u24 v44, 0x48, v29, 0
	v_mad_u32_u24 v45, 0x48, v30, 0
	ds_read2_b64 v[29:32], v1 offset0:189 offset1:216
	v_mul_lo_u16 v36, v41, 9
	v_mul_lo_u16 v37, v42, 9
	v_lshlrev_b32_sdwa v33, v7, v33 dst_sel:DWORD dst_unused:UNUSED_PAD src0_sel:DWORD src1_sel:BYTE_0
	v_lshlrev_b32_sdwa v34, v7, v34 dst_sel:DWORD dst_unused:UNUSED_PAD src0_sel:DWORD src1_sel:BYTE_0
	v_add3_u32 v49, v35, v38, v8
	v_sub_nc_u16 v47, v6, v36
	v_sub_nc_u16 v48, v5, v37
	v_add3_u32 v44, v44, v33, v8
	v_add3_u32 v45, v45, v34, v8
	ds_read_b64 v[37:38], v2
	ds_read2_b64 v[33:36], v1 offset0:27 offset1:54
	v_lshlrev_b32_sdwa v46, v39, v43 dst_sel:DWORD dst_unused:UNUSED_PAD src0_sel:DWORD src1_sel:BYTE_0
	v_lshlrev_b32_sdwa v50, v39, v47 dst_sel:DWORD dst_unused:UNUSED_PAD src0_sel:DWORD src1_sel:BYTE_0
	s_waitcnt vmcnt(0) lgkmcnt(0)
	s_barrier
	buffer_gl0_inv
	v_mul_f32_e32 v51, v10, v22
	v_mul_f32_e32 v10, v10, v21
	v_mul_f32_e32 v52, v12, v28
	v_mul_f32_e32 v12, v12, v27
	v_mul_f32_e32 v53, v14, v24
	v_mul_f32_e32 v14, v14, v23
	v_mul_f32_e32 v54, v16, v30
	v_mul_f32_e32 v16, v16, v29
	v_mul_f32_e32 v55, v18, v26
	v_fma_f32 v21, v9, v21, -v51
	v_fmac_f32_e32 v10, v9, v22
	v_fma_f32 v9, v11, v27, -v52
	v_fmac_f32_e32 v12, v11, v28
	v_mul_f32_e32 v11, v18, v25
	v_mul_f32_e32 v18, v32, v20
	;; [unrolled: 1-line block ×3, first 2 shown]
	v_fma_f32 v22, v13, v23, -v53
	v_fmac_f32_e32 v14, v13, v24
	v_fma_f32 v13, v15, v29, -v54
	v_fmac_f32_e32 v16, v15, v30
	v_fma_f32 v15, v17, v25, -v55
	v_fmac_f32_e32 v11, v17, v26
	v_fma_f32 v17, v31, v19, -v18
	v_fmac_f32_e32 v20, v32, v19
	v_add_f32_e32 v19, v21, v9
	v_add_f32_e32 v25, v10, v12
	;; [unrolled: 1-line block ×4, first 2 shown]
	v_sub_f32_e32 v28, v14, v16
	v_add_f32_e32 v29, v34, v14
	v_add_f32_e32 v14, v14, v16
	v_add_f32_e32 v31, v15, v17
	v_add_f32_e32 v52, v11, v20
	v_add_f32_e32 v18, v37, v21
	v_sub_f32_e32 v23, v10, v12
	v_add_f32_e32 v24, v38, v10
	v_sub_f32_e32 v21, v21, v9
	v_add_f32_e32 v30, v35, v15
	v_fma_f32 v37, -0.5, v19, v37
	v_fmac_f32_e32 v38, -0.5, v25
	v_sub_f32_e32 v22, v22, v13
	v_sub_f32_e32 v32, v11, v20
	v_add_f32_e32 v51, v36, v11
	v_add_f32_e32 v11, v26, v13
	v_fma_f32 v13, -0.5, v27, v33
	v_fma_f32 v14, -0.5, v14, v34
	v_sub_f32_e32 v53, v15, v17
	v_fma_f32 v35, -0.5, v31, v35
	v_fmac_f32_e32 v36, -0.5, v52
	v_add_f32_e32 v9, v18, v9
	v_add_f32_e32 v10, v24, v12
	;; [unrolled: 1-line block ×3, first 2 shown]
	v_fmamk_f32 v17, v23, 0x3f5db3d7, v37
	v_fmamk_f32 v18, v21, 0xbf5db3d7, v38
	v_fmac_f32_e32 v37, 0xbf5db3d7, v23
	v_fmac_f32_e32 v38, 0x3f5db3d7, v21
	v_add_f32_e32 v12, v29, v16
	v_add_f32_e32 v16, v51, v20
	v_fmamk_f32 v19, v28, 0x3f5db3d7, v13
	v_fmamk_f32 v20, v22, 0xbf5db3d7, v14
	v_fmac_f32_e32 v13, 0xbf5db3d7, v28
	v_fmac_f32_e32 v14, 0x3f5db3d7, v22
	v_fmamk_f32 v21, v32, 0x3f5db3d7, v35
	v_fmamk_f32 v22, v53, 0xbf5db3d7, v36
	v_fmac_f32_e32 v35, 0xbf5db3d7, v32
	v_fmac_f32_e32 v36, 0x3f5db3d7, v53
	ds_write2_b64 v49, v[9:10], v[17:18] offset1:3
	ds_write_b64 v49, v[37:38] offset:48
	ds_write2_b64 v44, v[11:12], v[19:20] offset1:3
	ds_write_b64 v44, v[13:14] offset:48
	;; [unrolled: 2-line block ×3, first 2 shown]
	v_lshlrev_b32_sdwa v17, v39, v48 dst_sel:DWORD dst_unused:UNUSED_PAD src0_sel:DWORD src1_sel:BYTE_0
	s_waitcnt lgkmcnt(0)
	s_barrier
	buffer_gl0_inv
	s_clause 0x2
	global_load_dwordx4 v[9:12], v46, s[8:9] offset:48
	global_load_dwordx4 v[13:16], v50, s[8:9] offset:48
	;; [unrolled: 1-line block ×3, first 2 shown]
	v_mul_lo_u16 v21, v5, 19
	v_and_b32_e32 v22, 0xffff, v40
	v_and_b32_e32 v29, 0xffff, v41
	;; [unrolled: 1-line block ×3, first 2 shown]
	v_lshlrev_b32_sdwa v35, v7, v43 dst_sel:DWORD dst_unused:UNUSED_PAD src0_sel:DWORD src1_sel:BYTE_0
	v_lshrrev_b16 v25, 9, v21
	v_mad_u32_u24 v33, 0xd8, v22, 0
	ds_read2_b64 v[21:24], v1 offset0:81 offset1:108
	v_mad_u32_u24 v36, 0xd8, v29, 0
	v_mad_u32_u24 v37, 0xd8, v30, 0
	v_mul_lo_u16 v34, v25, 27
	ds_read2_b64 v[25:28], v1 offset0:135 offset1:162
	ds_read2_b64 v[29:32], v1 offset0:189 offset1:216
	v_lshlrev_b32_sdwa v38, v7, v47 dst_sel:DWORD dst_unused:UNUSED_PAD src0_sel:DWORD src1_sel:BYTE_0
	v_lshlrev_b32_sdwa v7, v7, v48 dst_sel:DWORD dst_unused:UNUSED_PAD src0_sel:DWORD src1_sel:BYTE_0
	v_sub_nc_u16 v34, v5, v34
	v_add3_u32 v39, v33, v35, v8
	v_add3_u32 v38, v36, v38, v8
	;; [unrolled: 1-line block ×3, first 2 shown]
	v_and_b32_e32 v40, 0xff, v34
	ds_read_b64 v[7:8], v2
	ds_read2_b64 v[33:36], v1 offset0:27 offset1:54
	s_waitcnt vmcnt(0) lgkmcnt(0)
	s_barrier
	buffer_gl0_inv
	v_lshl_add_u32 v3, v40, 3, v3
	v_mul_f32_e32 v41, v10, v22
	v_mul_f32_e32 v10, v10, v21
	;; [unrolled: 1-line block ×12, first 2 shown]
	v_fma_f32 v21, v9, v21, -v41
	v_fmac_f32_e32 v10, v9, v22
	v_fma_f32 v9, v11, v27, -v42
	v_fmac_f32_e32 v12, v11, v28
	;; [unrolled: 2-line block ×6, first 2 shown]
	v_add_f32_e32 v22, v21, v9
	v_add_f32_e32 v25, v10, v12
	;; [unrolled: 1-line block ×4, first 2 shown]
	v_sub_f32_e32 v28, v14, v16
	v_add_f32_e32 v29, v34, v14
	v_add_f32_e32 v14, v14, v16
	;; [unrolled: 1-line block ×3, first 2 shown]
	v_sub_f32_e32 v41, v18, v20
	v_add_f32_e32 v42, v36, v18
	v_add_f32_e32 v18, v18, v20
	v_add_f32_e32 v19, v7, v21
	v_sub_f32_e32 v23, v10, v12
	v_add_f32_e32 v24, v8, v10
	v_sub_f32_e32 v21, v21, v9
	v_add_f32_e32 v31, v35, v15
	v_fma_f32 v7, -0.5, v22, v7
	v_fmac_f32_e32 v8, -0.5, v25
	v_sub_f32_e32 v30, v11, v13
	v_add_f32_e32 v11, v26, v13
	v_fma_f32 v13, -0.5, v27, v33
	v_fma_f32 v14, -0.5, v14, v34
	v_sub_f32_e32 v43, v15, v17
	v_fma_f32 v35, -0.5, v32, v35
	v_fmac_f32_e32 v36, -0.5, v18
	v_add_f32_e32 v9, v19, v9
	v_add_f32_e32 v10, v24, v12
	;; [unrolled: 1-line block ×3, first 2 shown]
	v_fmamk_f32 v17, v23, 0x3f5db3d7, v7
	v_fmamk_f32 v18, v21, 0xbf5db3d7, v8
	v_fmac_f32_e32 v7, 0xbf5db3d7, v23
	v_fmac_f32_e32 v8, 0x3f5db3d7, v21
	v_add_f32_e32 v12, v29, v16
	v_add_f32_e32 v16, v42, v20
	v_fmamk_f32 v19, v28, 0x3f5db3d7, v13
	v_fmamk_f32 v20, v30, 0xbf5db3d7, v14
	v_fmac_f32_e32 v13, 0xbf5db3d7, v28
	v_fmac_f32_e32 v14, 0x3f5db3d7, v30
	v_fmamk_f32 v21, v41, 0x3f5db3d7, v35
	v_fmamk_f32 v22, v43, 0xbf5db3d7, v36
	v_fmac_f32_e32 v35, 0xbf5db3d7, v41
	v_fmac_f32_e32 v36, 0x3f5db3d7, v43
	ds_write2_b64 v39, v[9:10], v[17:18] offset1:9
	ds_write_b64 v39, v[7:8] offset:144
	ds_write2_b64 v38, v[11:12], v[19:20] offset1:9
	ds_write_b64 v38, v[13:14] offset:144
	ds_write2_b64 v37, v[15:16], v[21:22] offset1:9
	ds_write_b64 v37, v[35:36] offset:144
	v_lshlrev_b32_e32 v11, 4, v40
	s_waitcnt lgkmcnt(0)
	s_barrier
	buffer_gl0_inv
	s_clause 0x1
	global_load_dwordx4 v[7:10], v4, s[8:9] offset:192
	global_load_dwordx4 v[11:14], v11, s[8:9] offset:192
	ds_read2_b64 v[15:18], v1 offset0:81 offset1:108
	ds_read2_b64 v[19:22], v1 offset0:135 offset1:162
	;; [unrolled: 1-line block ×3, first 2 shown]
	ds_read_b64 v[31:32], v2
	ds_read2_b64 v[27:30], v1 offset0:27 offset1:54
	v_lshlrev_b32_e32 v33, 4, v6
	s_waitcnt vmcnt(0) lgkmcnt(0)
	s_barrier
	buffer_gl0_inv
	v_mul_f32_e32 v6, v8, v16
	v_mul_f32_e32 v34, v8, v15
	;; [unrolled: 1-line block ×12, first 2 shown]
	v_fma_f32 v6, v7, v15, -v6
	v_fmac_f32_e32 v34, v7, v16
	v_fma_f32 v15, v9, v21, -v35
	v_fmac_f32_e32 v36, v9, v22
	;; [unrolled: 2-line block ×6, first 2 shown]
	v_add_f32_e32 v10, v6, v15
	v_add_f32_e32 v13, v34, v36
	v_add_f32_e32 v11, v32, v34
	v_add_f32_e32 v22, v16, v17
	v_add_f32_e32 v25, v8, v39
	v_sub_f32_e32 v19, v34, v36
	v_add_f32_e32 v34, v7, v18
	v_add_f32_e32 v38, v12, v14
	;; [unrolled: 1-line block ×3, first 2 shown]
	v_sub_f32_e32 v20, v6, v15
	v_add_f32_e32 v37, v30, v12
	v_fma_f32 v31, -0.5, v10, v31
	v_fmac_f32_e32 v32, -0.5, v13
	v_add_f32_e32 v21, v27, v16
	v_add_f32_e32 v24, v28, v8
	v_sub_f32_e32 v23, v8, v39
	v_sub_f32_e32 v26, v16, v17
	v_add_f32_e32 v16, v29, v7
	v_sub_f32_e32 v40, v7, v18
	v_add_f32_e32 v7, v11, v36
	v_fma_f32 v10, -0.5, v22, v27
	v_fma_f32 v11, -0.5, v25, v28
	v_sub_f32_e32 v35, v12, v14
	v_fma_f32 v29, -0.5, v34, v29
	v_fmac_f32_e32 v30, -0.5, v38
	v_add_f32_e32 v6, v9, v15
	v_add_f32_e32 v13, v37, v14
	v_fmamk_f32 v14, v19, 0x3f5db3d7, v31
	v_fmamk_f32 v15, v20, 0xbf5db3d7, v32
	v_add_f32_e32 v8, v21, v17
	v_add_f32_e32 v9, v24, v39
	v_fmac_f32_e32 v31, 0xbf5db3d7, v19
	v_fmac_f32_e32 v32, 0x3f5db3d7, v20
	v_add_f32_e32 v12, v16, v18
	v_fmamk_f32 v16, v23, 0x3f5db3d7, v10
	v_fmac_f32_e32 v10, 0xbf5db3d7, v23
	v_fmamk_f32 v17, v26, 0xbf5db3d7, v11
	v_fmac_f32_e32 v11, 0x3f5db3d7, v26
	v_fmamk_f32 v18, v35, 0x3f5db3d7, v29
	v_fmamk_f32 v19, v40, 0xbf5db3d7, v30
	v_fmac_f32_e32 v29, 0xbf5db3d7, v35
	v_fmac_f32_e32 v30, 0x3f5db3d7, v40
	ds_write2_b64 v1, v[6:7], v[14:15] offset1:27
	ds_write2_b64 v1, v[31:32], v[8:9] offset0:54 offset1:81
	ds_write2_b64 v1, v[16:17], v[10:11] offset0:108 offset1:135
	;; [unrolled: 1-line block ×3, first 2 shown]
	ds_write_b64 v3, v[29:30] offset:1728
	v_lshlrev_b32_e32 v7, 4, v5
	s_waitcnt lgkmcnt(0)
	s_barrier
	buffer_gl0_inv
	s_clause 0x2
	global_load_dwordx4 v[9:12], v4, s[8:9] offset:624
	global_load_dwordx4 v[3:6], v33, s[8:9] offset:624
	;; [unrolled: 1-line block ×3, first 2 shown]
	ds_read2_b64 v[17:20], v1 offset0:81 offset1:108
	ds_read2_b64 v[21:24], v1 offset0:135 offset1:162
	;; [unrolled: 1-line block ×3, first 2 shown]
	ds_read_b64 v[33:34], v2
	ds_read2_b64 v[29:32], v1 offset0:27 offset1:54
	s_mul_i32 s9, s13, s1
	v_lshrrev_b32_e32 v7, 3, v0
	s_add_i32 s10, s10, s9
	v_and_b32_e32 v8, 7, v0
	s_add_u32 s9, s11, s19
	s_addc_u32 s10, s10, 0
	s_add_i32 s14, s14, s7
	s_add_u32 s6, s9, s6
	s_mov_b32 s8, 0
	s_addc_u32 s7, s10, s14
	s_andn2_b32 vcc_lo, exec_lo, s3
	v_add_nc_u32_e32 v35, 0x400, v1
	s_waitcnt vmcnt(0) lgkmcnt(0)
	s_barrier
	buffer_gl0_inv
	v_mul_f32_e32 v2, v10, v18
	v_mul_f32_e32 v10, v10, v17
	;; [unrolled: 1-line block ×12, first 2 shown]
	v_fma_f32 v2, v9, v17, -v2
	v_fmac_f32_e32 v10, v9, v18
	v_fma_f32 v9, v11, v23, -v36
	v_fmac_f32_e32 v12, v11, v24
	;; [unrolled: 2-line block ×6, first 2 shown]
	v_add_f32_e32 v15, v2, v9
	v_sub_f32_e32 v18, v10, v12
	v_add_f32_e32 v19, v34, v10
	v_add_f32_e32 v10, v10, v12
	;; [unrolled: 1-line block ×7, first 2 shown]
	v_sub_f32_e32 v26, v11, v17
	v_add_f32_e32 v11, v31, v3
	v_add_f32_e32 v27, v3, v13
	v_sub_f32_e32 v28, v14, v16
	v_add_f32_e32 v36, v32, v14
	v_add_f32_e32 v14, v14, v16
	v_sub_f32_e32 v20, v2, v9
	v_fma_f32 v33, -0.5, v15, v33
	v_fmac_f32_e32 v34, -0.5, v10
	v_sub_f32_e32 v23, v4, v6
	v_add_f32_e32 v2, v5, v9
	v_fma_f32 v15, -0.5, v22, v29
	v_add_f32_e32 v5, v24, v6
	v_fma_f32 v6, -0.5, v25, v30
	v_sub_f32_e32 v37, v3, v13
	v_add_f32_e32 v3, v19, v12
	v_add_f32_e32 v4, v21, v17
	;; [unrolled: 1-line block ×3, first 2 shown]
	v_fma_f32 v13, -0.5, v27, v31
	v_fmac_f32_e32 v32, -0.5, v14
	v_fmamk_f32 v11, v18, 0x3f5db3d7, v33
	v_fmac_f32_e32 v33, 0xbf5db3d7, v18
	v_fmamk_f32 v12, v20, 0xbf5db3d7, v34
	v_fmac_f32_e32 v34, 0x3f5db3d7, v20
	v_add_f32_e32 v10, v36, v16
	v_fmamk_f32 v14, v23, 0x3f5db3d7, v15
	v_fmamk_f32 v16, v26, 0xbf5db3d7, v6
	v_fmac_f32_e32 v15, 0xbf5db3d7, v23
	v_fmac_f32_e32 v6, 0x3f5db3d7, v26
	v_fmamk_f32 v17, v28, 0x3f5db3d7, v13
	v_fmac_f32_e32 v13, 0xbf5db3d7, v28
	v_fmamk_f32 v18, v37, 0xbf5db3d7, v32
	v_fmac_f32_e32 v32, 0x3f5db3d7, v37
	ds_write2_b64 v1, v[2:3], v[4:5] offset1:27
	ds_write_b64 v1, v[33:34] offset:1296
	ds_write2_b32 v1, v14, v16 offset0:216 offset1:217
	ds_write2_b32 v35, v15, v6 offset0:122 offset1:123
	ds_write2_b64 v1, v[9:10], v[11:12] offset0:54 offset1:81
	ds_write2_b32 v35, v17, v18 offset0:14 offset1:15
	ds_write2_b32 v35, v13, v32 offset0:176 offset1:177
	s_waitcnt lgkmcnt(0)
	s_barrier
	buffer_gl0_inv
	s_cbranch_vccnz .LBB0_10
; %bb.7:
	v_mad_u64_u32 v[2:3], null, s12, v8, 0
	v_mul_lo_u32 v18, v7, s2
	v_mov_b32_e32 v19, 0
	s_mul_i32 s10, s2, 27
	s_lshl_b64 s[8:9], s[6:7], 3
	s_mov_b32 s3, 0
	s_add_u32 s8, s4, s8
	v_mov_b32_e32 v1, v3
	s_addc_u32 s9, s5, s9
	v_lshlrev_b64 v[14:15], 3, v[18:19]
	v_add_nc_u32_e32 v18, s10, v18
	v_mad_u64_u32 v[3:4], null, s13, v8, v[1:2]
	v_mad_u32_u24 v1, 0x7a0, v8, 0
	v_lshlrev_b64 v[16:17], 3, v[18:19]
	v_add_nc_u32_e32 v18, s10, v18
	v_lshl_add_u32 v30, v7, 3, v1
	v_lshlrev_b64 v[20:21], 3, v[2:3]
	v_lshlrev_b64 v[22:23], 3, v[18:19]
	ds_read2_b64 v[3:6], v30 offset1:27
	ds_read2_b64 v[10:13], v30 offset0:54 offset1:81
	v_add_nc_u32_e32 v18, s10, v18
	v_add_co_u32 v2, vcc_lo, s8, v20
	v_add_co_ci_u32_e32 v9, vcc_lo, s9, v21, vcc_lo
	v_lshlrev_b64 v[20:21], 3, v[18:19]
	v_add_co_u32 v24, vcc_lo, v2, v14
	v_add_co_ci_u32_e32 v25, vcc_lo, v9, v15, vcc_lo
	v_add_co_u32 v26, vcc_lo, v2, v16
	v_add_nc_u32_e32 v18, s10, v18
	v_add_co_ci_u32_e32 v27, vcc_lo, v9, v17, vcc_lo
	ds_read2_b64 v[14:17], v30 offset0:108 offset1:135
	v_add_co_u32 v22, vcc_lo, v2, v22
	v_add_co_ci_u32_e32 v23, vcc_lo, v9, v23, vcc_lo
	v_lshlrev_b64 v[28:29], 3, v[18:19]
	v_add_nc_u32_e32 v18, s10, v18
	v_add_co_u32 v20, vcc_lo, v2, v20
	v_add_co_ci_u32_e32 v21, vcc_lo, v9, v21, vcc_lo
	s_waitcnt lgkmcnt(2)
	global_store_dwordx2 v[24:25], v[3:4], off
	global_store_dwordx2 v[26:27], v[5:6], off
	s_waitcnt lgkmcnt(1)
	global_store_dwordx2 v[22:23], v[10:11], off
	global_store_dwordx2 v[20:21], v[12:13], off
	v_lshlrev_b64 v[3:4], 3, v[18:19]
	v_add_co_u32 v10, vcc_lo, v2, v28
	v_add_co_ci_u32_e32 v11, vcc_lo, v9, v29, vcc_lo
	v_add_nc_u32_e32 v18, s10, v18
	v_add_co_u32 v12, vcc_lo, v2, v3
	v_add_co_ci_u32_e32 v13, vcc_lo, v9, v4, vcc_lo
	v_lshlrev_b64 v[20:21], 3, v[18:19]
	v_add_nc_u32_e32 v18, s10, v18
	ds_read2_b64 v[3:6], v30 offset0:162 offset1:189
	s_waitcnt lgkmcnt(1)
	global_store_dwordx2 v[10:11], v[14:15], off
	global_store_dwordx2 v[12:13], v[16:17], off
	ds_read_b64 v[10:11], v30 offset:1728
	s_mov_b32 s8, 0
	v_lshlrev_b64 v[12:13], 3, v[18:19]
	v_add_nc_u32_e32 v18, s10, v18
	v_add_co_u32 v14, vcc_lo, v2, v20
	v_add_co_ci_u32_e32 v15, vcc_lo, v9, v21, vcc_lo
	v_lshlrev_b64 v[16:17], 3, v[18:19]
	v_add_co_u32 v12, vcc_lo, v2, v12
	v_add_co_ci_u32_e32 v13, vcc_lo, v9, v13, vcc_lo
	s_mov_b32 s9, exec_lo
	v_add_co_u32 v16, vcc_lo, v2, v16
	v_add_co_ci_u32_e32 v17, vcc_lo, v9, v17, vcc_lo
	s_waitcnt lgkmcnt(1)
	global_store_dwordx2 v[14:15], v[3:4], off
	global_store_dwordx2 v[12:13], v[5:6], off
                                        ; implicit-def: $vgpr4
                                        ; implicit-def: $vgpr5_vgpr6
	s_waitcnt lgkmcnt(0)
	global_store_dwordx2 v[16:17], v[10:11], off
	v_cmpx_gt_u32_e32 8, v0
	s_cbranch_execz .LBB0_9
; %bb.8:
	ds_read_b64 v[3:4], v1 offset:1944
	s_mul_i32 s10, s2, 0xf3
	s_mov_b32 s11, 0
	s_mov_b32 s8, exec_lo
	s_lshl_b64 s[10:11], s[10:11], 3
	v_add_co_u32 v5, vcc_lo, v2, s10
	v_add_co_ci_u32_e32 v6, vcc_lo, s11, v9, vcc_lo
	s_waitcnt lgkmcnt(0)
	global_store_dword v[5:6], v3, off
.LBB0_9:
	s_or_b32 exec_lo, exec_lo, s9
	s_and_b32 vcc_lo, exec_lo, s3
	s_cbranch_vccnz .LBB0_11
	s_branch .LBB0_16
.LBB0_10:
                                        ; implicit-def: $vgpr4
                                        ; implicit-def: $vgpr5_vgpr6
	s_cbranch_execz .LBB0_16
.LBB0_11:
	v_or_b32_e32 v1, s1, v8
	s_mov_b32 s1, exec_lo
                                        ; implicit-def: $vgpr4
                                        ; implicit-def: $vgpr5_vgpr6
	v_cmpx_gt_u32_e64 s0, v1
	s_cbranch_execz .LBB0_15
; %bb.12:
	v_mad_u64_u32 v[4:5], null, s12, v8, 0
	v_mul_lo_u32 v1, v7, s2
	v_mov_b32_e32 v2, 0
	s_mul_i32 s2, s2, 27
	s_lshl_b64 s[6:7], s[6:7], 3
	s_add_u32 s3, s4, s6
	v_mov_b32_e32 v3, v5
	s_addc_u32 s4, s5, s7
	v_lshlrev_b64 v[17:18], 3, v[1:2]
	v_add_nc_u32_e32 v1, s2, v1
	s_and_b32 s0, s0, 7
	v_mad_u64_u32 v[5:6], null, s13, v8, v[3:4]
	v_mad_u32_u24 v3, 0x7a0, v8, 0
	v_lshlrev_b64 v[19:20], 3, v[1:2]
	v_add_nc_u32_e32 v1, s2, v1
	v_lshl_add_u32 v6, v7, 3, v3
	v_lshlrev_b64 v[4:5], 3, v[4:5]
	v_lshlrev_b64 v[21:22], 3, v[1:2]
	ds_read2_b64 v[9:12], v6 offset1:27
	ds_read2_b64 v[13:16], v6 offset0:54 offset1:81
	v_add_nc_u32_e32 v1, s2, v1
	v_add_co_u32 v7, vcc_lo, s3, v4
	v_add_co_ci_u32_e32 v8, vcc_lo, s4, v5, vcc_lo
	s_mov_b32 s3, s8
	v_add_co_u32 v4, vcc_lo, v7, v17
	v_add_co_ci_u32_e32 v5, vcc_lo, v8, v18, vcc_lo
	v_add_co_u32 v17, vcc_lo, v7, v19
	v_add_co_ci_u32_e32 v18, vcc_lo, v8, v20, vcc_lo
	;; [unrolled: 2-line block ×3, first 2 shown]
	s_waitcnt lgkmcnt(1)
	global_store_dwordx2 v[4:5], v[9:10], off
	global_store_dwordx2 v[17:18], v[11:12], off
	s_waitcnt lgkmcnt(0)
	global_store_dwordx2 v[19:20], v[13:14], off
	ds_read2_b64 v[9:12], v6 offset0:108 offset1:135
	v_lshlrev_b64 v[21:22], 3, v[1:2]
	v_add_nc_u32_e32 v1, s2, v1
	v_lshlrev_b64 v[4:5], 3, v[1:2]
	v_add_nc_u32_e32 v1, s2, v1
	v_add_co_u32 v13, vcc_lo, v7, v21
	v_add_co_ci_u32_e32 v14, vcc_lo, v8, v22, vcc_lo
	v_lshlrev_b64 v[17:18], 3, v[1:2]
	v_add_nc_u32_e32 v1, s2, v1
	v_add_co_u32 v4, vcc_lo, v7, v4
	v_add_co_ci_u32_e32 v5, vcc_lo, v8, v5, vcc_lo
	v_lshlrev_b64 v[19:20], 3, v[1:2]
	v_add_nc_u32_e32 v1, s2, v1
	v_add_co_u32 v17, vcc_lo, v7, v17
	global_store_dwordx2 v[13:14], v[15:16], off
	s_waitcnt lgkmcnt(0)
	global_store_dwordx2 v[4:5], v[9:10], off
	ds_read2_b64 v[13:16], v6 offset0:162 offset1:189
	ds_read_b64 v[9:10], v6 offset:1728
	v_add_co_ci_u32_e32 v18, vcc_lo, v8, v18, vcc_lo
	v_lshlrev_b64 v[4:5], 3, v[1:2]
	v_add_nc_u32_e32 v1, s2, v1
	global_store_dwordx2 v[17:18], v[11:12], off
	v_add_co_u32 v11, vcc_lo, v7, v19
	v_lshlrev_b64 v[17:18], 3, v[1:2]
	v_add_co_ci_u32_e32 v12, vcc_lo, v8, v20, vcc_lo
	v_add_co_u32 v4, vcc_lo, v7, v4
	v_add_co_ci_u32_e32 v5, vcc_lo, v8, v5, vcc_lo
	v_add_co_u32 v17, vcc_lo, v7, v17
	v_add_co_ci_u32_e32 v18, vcc_lo, v8, v18, vcc_lo
	v_cmp_gt_u32_e32 vcc_lo, s0, v0
	s_waitcnt lgkmcnt(1)
	global_store_dwordx2 v[11:12], v[13:14], off
	global_store_dwordx2 v[4:5], v[15:16], off
                                        ; implicit-def: $vgpr4
                                        ; implicit-def: $vgpr5_vgpr6
	s_waitcnt lgkmcnt(0)
	global_store_dwordx2 v[17:18], v[9:10], off
	s_and_saveexec_b32 s0, vcc_lo
	s_cbranch_execz .LBB0_14
; %bb.13:
	ds_read_b64 v[3:4], v3 offset:1944
	v_add_nc_u32_e32 v1, s2, v1
	s_or_b32 s3, s8, exec_lo
	v_lshlrev_b64 v[0:1], 3, v[1:2]
	v_add_co_u32 v5, vcc_lo, v7, v0
	v_add_co_ci_u32_e32 v6, vcc_lo, v8, v1, vcc_lo
	s_waitcnt lgkmcnt(0)
	global_store_dword v[5:6], v3, off
.LBB0_14:
	s_or_b32 exec_lo, exec_lo, s0
	s_andn2_b32 s0, s8, exec_lo
	s_and_b32 s2, s3, exec_lo
	s_or_b32 s8, s0, s2
.LBB0_15:
	s_or_b32 exec_lo, exec_lo, s1
.LBB0_16:
	s_and_saveexec_b32 s0, s8
	s_cbranch_execnz .LBB0_18
; %bb.17:
	s_endpgm
.LBB0_18:
	global_store_dword v[5:6], v4, off offset:4
	s_endpgm
	.section	.rodata,"a",@progbits
	.p2align	6, 0x0
	.amdhsa_kernel fft_rtc_fwd_len243_factors_3_3_3_3_3_wgs_216_tpt_27_sp_op_CI_CI_sbrc_erc_z_xy_unaligned_dirReg
		.amdhsa_group_segment_fixed_size 0
		.amdhsa_private_segment_fixed_size 0
		.amdhsa_kernarg_size 104
		.amdhsa_user_sgpr_count 6
		.amdhsa_user_sgpr_private_segment_buffer 1
		.amdhsa_user_sgpr_dispatch_ptr 0
		.amdhsa_user_sgpr_queue_ptr 0
		.amdhsa_user_sgpr_kernarg_segment_ptr 1
		.amdhsa_user_sgpr_dispatch_id 0
		.amdhsa_user_sgpr_flat_scratch_init 0
		.amdhsa_user_sgpr_private_segment_size 0
		.amdhsa_wavefront_size32 1
		.amdhsa_uses_dynamic_stack 0
		.amdhsa_system_sgpr_private_segment_wavefront_offset 0
		.amdhsa_system_sgpr_workgroup_id_x 1
		.amdhsa_system_sgpr_workgroup_id_y 0
		.amdhsa_system_sgpr_workgroup_id_z 0
		.amdhsa_system_sgpr_workgroup_info 0
		.amdhsa_system_vgpr_workitem_id 0
		.amdhsa_next_free_vgpr 56
		.amdhsa_next_free_sgpr 26
		.amdhsa_reserve_vcc 1
		.amdhsa_reserve_flat_scratch 0
		.amdhsa_float_round_mode_32 0
		.amdhsa_float_round_mode_16_64 0
		.amdhsa_float_denorm_mode_32 3
		.amdhsa_float_denorm_mode_16_64 3
		.amdhsa_dx10_clamp 1
		.amdhsa_ieee_mode 1
		.amdhsa_fp16_overflow 0
		.amdhsa_workgroup_processor_mode 1
		.amdhsa_memory_ordered 1
		.amdhsa_forward_progress 0
		.amdhsa_shared_vgpr_count 0
		.amdhsa_exception_fp_ieee_invalid_op 0
		.amdhsa_exception_fp_denorm_src 0
		.amdhsa_exception_fp_ieee_div_zero 0
		.amdhsa_exception_fp_ieee_overflow 0
		.amdhsa_exception_fp_ieee_underflow 0
		.amdhsa_exception_fp_ieee_inexact 0
		.amdhsa_exception_int_div_zero 0
	.end_amdhsa_kernel
	.text
.Lfunc_end0:
	.size	fft_rtc_fwd_len243_factors_3_3_3_3_3_wgs_216_tpt_27_sp_op_CI_CI_sbrc_erc_z_xy_unaligned_dirReg, .Lfunc_end0-fft_rtc_fwd_len243_factors_3_3_3_3_3_wgs_216_tpt_27_sp_op_CI_CI_sbrc_erc_z_xy_unaligned_dirReg
                                        ; -- End function
	.section	.AMDGPU.csdata,"",@progbits
; Kernel info:
; codeLenInByte = 6348
; NumSgprs: 28
; NumVgprs: 56
; ScratchSize: 0
; MemoryBound: 0
; FloatMode: 240
; IeeeMode: 1
; LDSByteSize: 0 bytes/workgroup (compile time only)
; SGPRBlocks: 3
; VGPRBlocks: 6
; NumSGPRsForWavesPerEU: 28
; NumVGPRsForWavesPerEU: 56
; Occupancy: 16
; WaveLimiterHint : 1
; COMPUTE_PGM_RSRC2:SCRATCH_EN: 0
; COMPUTE_PGM_RSRC2:USER_SGPR: 6
; COMPUTE_PGM_RSRC2:TRAP_HANDLER: 0
; COMPUTE_PGM_RSRC2:TGID_X_EN: 1
; COMPUTE_PGM_RSRC2:TGID_Y_EN: 0
; COMPUTE_PGM_RSRC2:TGID_Z_EN: 0
; COMPUTE_PGM_RSRC2:TIDIG_COMP_CNT: 0
	.text
	.p2alignl 6, 3214868480
	.fill 48, 4, 3214868480
	.type	__hip_cuid_461c7ebd76123661,@object ; @__hip_cuid_461c7ebd76123661
	.section	.bss,"aw",@nobits
	.globl	__hip_cuid_461c7ebd76123661
__hip_cuid_461c7ebd76123661:
	.byte	0                               ; 0x0
	.size	__hip_cuid_461c7ebd76123661, 1

	.ident	"AMD clang version 19.0.0git (https://github.com/RadeonOpenCompute/llvm-project roc-6.4.0 25133 c7fe45cf4b819c5991fe208aaa96edf142730f1d)"
	.section	".note.GNU-stack","",@progbits
	.addrsig
	.addrsig_sym __hip_cuid_461c7ebd76123661
	.amdgpu_metadata
---
amdhsa.kernels:
  - .args:
      - .actual_access:  read_only
        .address_space:  global
        .offset:         0
        .size:           8
        .value_kind:     global_buffer
      - .offset:         8
        .size:           8
        .value_kind:     by_value
      - .actual_access:  read_only
        .address_space:  global
        .offset:         16
        .size:           8
        .value_kind:     global_buffer
      - .actual_access:  read_only
        .address_space:  global
        .offset:         24
        .size:           8
        .value_kind:     global_buffer
      - .actual_access:  read_only
        .address_space:  global
        .offset:         32
        .size:           8
        .value_kind:     global_buffer
      - .offset:         40
        .size:           8
        .value_kind:     by_value
      - .actual_access:  read_only
        .address_space:  global
        .offset:         48
        .size:           8
        .value_kind:     global_buffer
      - .actual_access:  read_only
        .address_space:  global
        .offset:         56
        .size:           8
        .value_kind:     global_buffer
      - .offset:         64
        .size:           4
        .value_kind:     by_value
      - .actual_access:  read_only
        .address_space:  global
        .offset:         72
        .size:           8
        .value_kind:     global_buffer
      - .actual_access:  read_only
        .address_space:  global
        .offset:         80
        .size:           8
        .value_kind:     global_buffer
      - .actual_access:  read_only
        .address_space:  global
        .offset:         88
        .size:           8
        .value_kind:     global_buffer
      - .actual_access:  write_only
        .address_space:  global
        .offset:         96
        .size:           8
        .value_kind:     global_buffer
    .group_segment_fixed_size: 0
    .kernarg_segment_align: 8
    .kernarg_segment_size: 104
    .language:       OpenCL C
    .language_version:
      - 2
      - 0
    .max_flat_workgroup_size: 216
    .name:           fft_rtc_fwd_len243_factors_3_3_3_3_3_wgs_216_tpt_27_sp_op_CI_CI_sbrc_erc_z_xy_unaligned_dirReg
    .private_segment_fixed_size: 0
    .sgpr_count:     28
    .sgpr_spill_count: 0
    .symbol:         fft_rtc_fwd_len243_factors_3_3_3_3_3_wgs_216_tpt_27_sp_op_CI_CI_sbrc_erc_z_xy_unaligned_dirReg.kd
    .uniform_work_group_size: 1
    .uses_dynamic_stack: false
    .vgpr_count:     56
    .vgpr_spill_count: 0
    .wavefront_size: 32
    .workgroup_processor_mode: 1
amdhsa.target:   amdgcn-amd-amdhsa--gfx1030
amdhsa.version:
  - 1
  - 2
...

	.end_amdgpu_metadata
